;; amdgpu-corpus repo=ROCm/rocFFT kind=compiled arch=gfx1030 opt=O3
	.text
	.amdgcn_target "amdgcn-amd-amdhsa--gfx1030"
	.amdhsa_code_object_version 6
	.protected	bluestein_single_fwd_len156_dim1_sp_op_CI_CI ; -- Begin function bluestein_single_fwd_len156_dim1_sp_op_CI_CI
	.globl	bluestein_single_fwd_len156_dim1_sp_op_CI_CI
	.p2align	8
	.type	bluestein_single_fwd_len156_dim1_sp_op_CI_CI,@function
bluestein_single_fwd_len156_dim1_sp_op_CI_CI: ; @bluestein_single_fwd_len156_dim1_sp_op_CI_CI
; %bb.0:
	s_load_dwordx4 s[8:11], s[4:5], 0x28
	v_mul_u32_u24_e32 v1, 0x13b2, v0
	v_lshrrev_b32_e32 v1, 16, v1
	v_mad_u64_u32 v[60:61], null, s6, 9, v[1:2]
	v_mov_b32_e32 v61, 0
                                        ; kill: def $vgpr2 killed $sgpr0 killed $exec
	s_mov_b32 s0, exec_lo
	s_waitcnt lgkmcnt(0)
	v_cmpx_gt_u64_e64 s[8:9], v[60:61]
	s_cbranch_execz .LBB0_10
; %bb.1:
	s_clause 0x1
	s_load_dwordx4 s[0:3], s[4:5], 0x18
	s_load_dwordx4 s[12:15], s[4:5], 0x0
	v_mul_lo_u16 v1, v1, 13
	v_mul_hi_u32 v26, 0x38e38e39, v60
                                        ; implicit-def: $vgpr93
	v_sub_nc_u16 v12, v0, v1
	v_lshrrev_b32_e32 v26, 1, v26
	v_and_b32_e32 v95, 0xffff, v12
	v_and_b32_e32 v28, 0xff, v12
	v_mul_lo_u16 v27, v12, 3
	v_lshl_add_u32 v26, v26, 3, v26
	v_lshlrev_b32_e32 v13, 3, v95
	v_add_co_u32 v29, null, v95, 13
	s_waitcnt lgkmcnt(0)
	s_load_dwordx4 s[16:19], s[0:1], 0x0
	s_clause 0x9
	global_load_dwordx2 v[79:80], v13, s[12:13] offset:416
	global_load_dwordx2 v[73:74], v13, s[12:13] offset:520
	;; [unrolled: 1-line block ×6, first 2 shown]
	global_load_dwordx2 v[83:84], v13, s[12:13]
	global_load_dwordx2 v[81:82], v13, s[12:13] offset:104
	global_load_dwordx2 v[67:68], v13, s[12:13] offset:208
	global_load_dwordx2 v[61:62], v13, s[12:13] offset:312
	v_mul_lo_u16 v28, 0xab, v28
	v_add_co_u32 v30, null, v95, 26
	v_sub_nc_u32_e32 v26, v60, v26
	v_and_b32_e32 v32, 0xff, v29
	v_lshrrev_b16 v34, 9, v28
	v_and_b32_e32 v28, 0xff, v30
	v_and_b32_e32 v27, 0xffff, v27
	v_mul_u32_u24_e32 v26, 0x9c, v26
	v_mul_lo_u16 v32, 0xab, v32
	v_mul_lo_u16 v36, v34, 3
	;; [unrolled: 1-line block ×3, first 2 shown]
	v_add_nc_u32_e32 v31, 39, v95
	v_lshlrev_b32_e32 v97, 3, v26
	v_lshrrev_b16 v32, 9, v32
	s_waitcnt lgkmcnt(0)
	v_mad_u64_u32 v[0:1], null, s18, v60, 0
	v_mad_u64_u32 v[2:3], null, s16, v95, 0
	s_mul_i32 s0, s17, 0x1a0
	s_mul_hi_u32 s1, s16, 0x1a0
	s_mul_i32 s6, s16, 0x1a0
	s_add_i32 s1, s1, s0
	s_mul_hi_u32 s8, s16, 0xfffffd28
	s_mul_i32 s7, s17, 0xfffffd28
	v_mad_u64_u32 v[4:5], null, s19, v60, v[1:2]
	s_mul_i32 s9, s16, 0xfffffd28
	s_sub_i32 s0, s8, s16
	v_sub_nc_u16 v36, v12, v36
	s_add_i32 s0, s0, s7
	v_mul_u32_u24_e32 v33, 3, v29
	v_mul_u32_u24_e32 v35, 3, v30
	v_mad_u64_u32 v[5:6], null, s17, v95, v[3:4]
	v_mov_b32_e32 v1, v4
	v_lshrrev_b16 v37, 9, v28
	v_lshl_add_u32 v101, v27, 3, v97
	v_mul_lo_u16 v27, v32, 3
	v_mul_lo_u16 v28, v36, 24
	v_lshlrev_b64 v[0:1], 3, v[0:1]
	v_mov_b32_e32 v3, v5
	v_mul_u32_u24_e32 v26, 3, v31
	v_lshl_add_u32 v100, v33, 3, v97
	v_lshl_add_u32 v99, v35, 3, v97
	v_sub_nc_u16 v33, v29, v27
	v_lshlrev_b64 v[2:3], 3, v[2:3]
	v_add_co_u32 v0, vcc_lo, s10, v0
	v_add_co_ci_u32_e32 v1, vcc_lo, s11, v1, vcc_lo
	v_and_b32_e32 v35, 0xf8, v28
	v_add_co_u32 v0, vcc_lo, v0, v2
	v_add_co_ci_u32_e32 v1, vcc_lo, v1, v3, vcc_lo
	v_lshl_add_u32 v98, v26, 3, v97
	v_add_co_u32 v2, vcc_lo, v0, s6
	v_add_co_ci_u32_e32 v3, vcc_lo, s1, v1, vcc_lo
	global_load_dwordx2 v[0:1], v[0:1], off
	v_add_co_u32 v4, vcc_lo, v2, s6
	v_add_co_ci_u32_e32 v5, vcc_lo, s1, v3, vcc_lo
	global_load_dwordx2 v[2:3], v[2:3], off
	;; [unrolled: 3-line block ×3, first 2 shown]
	v_add_co_u32 v8, vcc_lo, v6, s6
	v_add_co_ci_u32_e32 v9, vcc_lo, s1, v7, vcc_lo
	v_add_nc_u32_e32 v96, v13, v97
	v_add_co_u32 v10, vcc_lo, v8, s6
	v_add_co_ci_u32_e32 v11, vcc_lo, s1, v9, vcc_lo
	s_clause 0x1
	global_load_dwordx2 v[6:7], v[6:7], off
	global_load_dwordx2 v[8:9], v[8:9], off
	v_add_co_u32 v14, vcc_lo, v10, s9
	v_add_co_ci_u32_e32 v15, vcc_lo, s0, v11, vcc_lo
	global_load_dwordx2 v[10:11], v[10:11], off
	v_add_co_u32 v16, vcc_lo, v14, s6
	v_add_co_ci_u32_e32 v17, vcc_lo, s1, v15, vcc_lo
	;; [unrolled: 3-line block ×6, first 2 shown]
	global_load_dwordx2 v[69:70], v13, s[12:13] offset:728
	global_load_dwordx2 v[22:23], v[22:23], off
	global_load_dwordx2 v[71:72], v13, s[12:13] offset:1144
	global_load_dwordx2 v[24:25], v[24:25], off
	s_load_dwordx4 s[8:11], s[2:3], 0x0
	v_mul_lo_u16 v31, v37, 3
	v_cmp_gt_u16_e32 vcc_lo, 12, v12
	s_load_dwordx2 s[2:3], s[4:5], 0x38
	v_sub_nc_u16 v30, v30, v31
	v_mul_lo_u16 v31, v33, 24
	s_waitcnt vmcnt(13)
	v_mul_f32_e32 v27, v0, v84
	v_mul_f32_e32 v26, v1, v84
	s_waitcnt vmcnt(12)
	v_mul_f32_e32 v28, v3, v80
	v_fma_f32 v27, v1, v83, -v27
	v_mul_f32_e32 v1, v2, v80
	v_fmac_f32_e32 v26, v0, v83
	v_fmac_f32_e32 v28, v2, v79
	s_waitcnt vmcnt(11)
	v_mul_f32_e32 v0, v5, v78
	v_mul_f32_e32 v38, v4, v78
	v_fma_f32 v29, v3, v79, -v1
	v_fmac_f32_e32 v0, v4, v77
	v_fma_f32 v1, v5, v77, -v38
	ds_write_b64 v96, v[28:29] offset:416
	ds_write_b64 v96, v[0:1] offset:832
	s_waitcnt vmcnt(10)
	v_mul_f32_e32 v2, v7, v82
	v_mul_f32_e32 v39, v6, v82
	s_waitcnt vmcnt(9)
	v_mul_f32_e32 v1, v8, v74
	v_mul_f32_e32 v4, v9, v74
	s_waitcnt vmcnt(8)
	v_mul_f32_e32 v0, v11, v76
	v_fmac_f32_e32 v2, v6, v81
	v_fma_f32 v3, v7, v81, -v39
	v_fma_f32 v5, v9, v73, -v1
	s_waitcnt vmcnt(7)
	v_mul_f32_e32 v7, v14, v68
	v_fmac_f32_e32 v4, v8, v73
	v_fmac_f32_e32 v0, v10, v75
	ds_write2_b64 v96, v[26:27], v[2:3] offset1:13
	v_mul_f32_e32 v3, v10, v76
	v_mul_f32_e32 v2, v15, v68
	s_waitcnt vmcnt(6)
	v_mul_f32_e32 v6, v17, v64
	v_and_b32_e32 v38, 0xff, v30
	v_and_b32_e32 v30, 0xf8, v31
	v_fma_f32 v1, v11, v75, -v3
	v_fma_f32 v3, v15, v67, -v7
	v_mul_f32_e32 v7, v16, v64
	s_waitcnt vmcnt(5)
	v_mul_f32_e32 v8, v19, v66
	v_mul_f32_e32 v9, v18, v66
	v_fmac_f32_e32 v2, v14, v67
	s_waitcnt vmcnt(4)
	v_mul_f32_e32 v10, v21, v62
	v_mul_f32_e32 v11, v20, v62
	v_fmac_f32_e32 v6, v16, v63
	s_waitcnt vmcnt(2)
	v_mul_f32_e32 v14, v23, v70
	v_mul_f32_e32 v15, v22, v70
	v_fma_f32 v7, v17, v63, -v7
	s_waitcnt vmcnt(0)
	v_mul_f32_e32 v16, v25, v72
	v_mul_f32_e32 v17, v24, v72
	v_fmac_f32_e32 v8, v18, v65
	v_fma_f32 v9, v19, v65, -v9
	v_fmac_f32_e32 v10, v20, v61
	v_fma_f32 v11, v21, v61, -v11
	;; [unrolled: 2-line block ×4, first 2 shown]
	ds_write2_b64 v96, v[4:5], v[6:7] offset0:65 offset1:78
	ds_write2_b64 v96, v[0:1], v[8:9] offset0:117 offset1:130
	;; [unrolled: 1-line block ×3, first 2 shown]
	ds_write_b64 v96, v[14:15] offset:728
	ds_write_b64 v96, v[16:17] offset:1144
	s_waitcnt lgkmcnt(0)
	s_barrier
	buffer_gl0_inv
	ds_read2_b64 v[0:3], v96 offset1:13
	ds_read2_b64 v[4:7], v96 offset0:52 offset1:65
	ds_read2_b64 v[8:11], v96 offset0:104 offset1:117
	;; [unrolled: 1-line block ×5, first 2 shown]
	v_add_co_u32 v26, s0, s14, v35
	v_add_co_ci_u32_e64 v27, null, s15, 0, s0
	v_mad_u64_u32 v[28:29], null, v38, 24, s[14:15]
	v_add_co_u32 v30, s0, s14, v30
	v_add_co_ci_u32_e64 v31, null, s15, 0, s0
	s_waitcnt lgkmcnt(0)
	s_barrier
	buffer_gl0_inv
	v_add_co_u32 v91, s0, s12, v13
	v_add_co_ci_u32_e64 v92, null, s13, 0, s0
	v_add_f32_e32 v35, v0, v4
	v_add_f32_e32 v39, v4, v8
	;; [unrolled: 1-line block ×6, first 2 shown]
	v_sub_f32_e32 v52, v19, v23
	v_add_f32_e32 v53, v15, v19
	v_add_f32_e32 v19, v19, v23
	v_sub_f32_e32 v40, v5, v9
	v_add_f32_e32 v41, v1, v5
	v_sub_f32_e32 v43, v4, v8
	v_add_f32_e32 v44, v2, v6
	v_add_f32_e32 v50, v14, v18
	v_sub_f32_e32 v54, v18, v22
	v_add_f32_e32 v18, v16, v20
	;; [unrolled: 3-line block ×3, first 2 shown]
	v_add_f32_e32 v21, v21, v25
	v_fma_f32 v0, -0.5, v39, v0
	v_fma_f32 v1, -0.5, v42, v1
	v_sub_f32_e32 v46, v7, v11
	v_add_f32_e32 v47, v3, v7
	v_sub_f32_e32 v49, v6, v10
	v_fma_f32 v2, -0.5, v45, v2
	v_fmac_f32_e32 v3, -0.5, v48
	v_fma_f32 v14, -0.5, v51, v14
	v_fma_f32 v15, -0.5, v19, v15
	v_sub_f32_e32 v58, v20, v24
	v_add_f32_e32 v4, v35, v8
	v_add_f32_e32 v5, v41, v9
	;; [unrolled: 1-line block ×4, first 2 shown]
	v_fma_f32 v16, -0.5, v55, v16
	v_fmac_f32_e32 v17, -0.5, v21
	v_fmamk_f32 v18, v40, 0x3f5db3d7, v0
	v_fmamk_f32 v19, v43, 0xbf5db3d7, v1
	v_fmac_f32_e32 v0, 0xbf5db3d7, v40
	v_fmac_f32_e32 v1, 0x3f5db3d7, v43
	v_add_f32_e32 v7, v47, v11
	v_fmamk_f32 v20, v46, 0x3f5db3d7, v2
	v_fmamk_f32 v21, v49, 0xbf5db3d7, v3
	v_fmac_f32_e32 v2, 0xbf5db3d7, v46
	v_fmac_f32_e32 v3, 0x3f5db3d7, v49
	v_add_f32_e32 v8, v50, v22
	v_add_f32_e32 v9, v53, v23
	;; [unrolled: 1-line block ×3, first 2 shown]
	v_fmamk_f32 v22, v52, 0x3f5db3d7, v14
	v_fmamk_f32 v23, v54, 0xbf5db3d7, v15
	v_fmac_f32_e32 v14, 0xbf5db3d7, v52
	v_fmac_f32_e32 v15, 0x3f5db3d7, v54
	v_fmamk_f32 v24, v56, 0x3f5db3d7, v16
	v_fmac_f32_e32 v16, 0xbf5db3d7, v56
	v_fmamk_f32 v25, v58, 0xbf5db3d7, v17
	v_fmac_f32_e32 v17, 0x3f5db3d7, v58
	ds_write2_b64 v101, v[4:5], v[18:19] offset1:1
	ds_write_b64 v101, v[0:1] offset:16
	ds_write2_b64 v100, v[6:7], v[20:21] offset1:1
	ds_write_b64 v100, v[2:3] offset:16
	;; [unrolled: 2-line block ×4, first 2 shown]
	s_waitcnt lgkmcnt(0)
	s_barrier
	buffer_gl0_inv
	s_clause 0x5
	global_load_dwordx4 v[8:11], v[26:27], off
	global_load_dwordx4 v[4:7], v[30:31], off
	;; [unrolled: 1-line block ×3, first 2 shown]
	global_load_dwordx2 v[89:90], v[26:27], off offset:16
	global_load_dwordx2 v[87:88], v[30:31], off offset:16
	;; [unrolled: 1-line block ×3, first 2 shown]
	v_mov_b32_e32 v14, 12
	v_mul_lo_u16 v16, v32, 12
	v_mul_lo_u16 v15, v34, 12
	ds_read2_b64 v[26:29], v96 offset0:130 offset1:143
	v_mul_u32_u24_sdwa v19, v37, v14 dst_sel:DWORD dst_unused:UNUSED_PAD src0_sel:WORD_0 src1_sel:DWORD
	v_or_b32_e32 v22, v16, v33
	v_or_b32_e32 v18, v15, v36
	ds_read2_b64 v[14:17], v96 offset0:78 offset1:91
	v_or_b32_e32 v30, v19, v38
	v_and_b32_e32 v31, 0xff, v22
	v_and_b32_e32 v12, 0xff, v18
	ds_read2_b64 v[18:21], v96 offset0:52 offset1:65
	ds_read2_b64 v[22:25], v96 offset0:104 offset1:117
	v_lshl_add_u32 v102, v30, 3, v97
	v_lshl_add_u32 v103, v31, 3, v97
	ds_read2_b64 v[30:33], v96 offset1:13
	ds_read2_b64 v[34:37], v96 offset0:26 offset1:39
	v_lshl_add_u32 v104, v12, 3, v97
	s_waitcnt vmcnt(0) lgkmcnt(0)
	s_barrier
	buffer_gl0_inv
	v_mul_f32_e32 v12, v15, v11
	v_mul_f32_e32 v13, v14, v11
	;; [unrolled: 1-line block ×18, first 2 shown]
	v_fma_f32 v12, v14, v10, -v12
	v_fmac_f32_e32 v13, v15, v10
	v_fma_f32 v14, v16, v6, -v38
	v_fmac_f32_e32 v39, v17, v6
	;; [unrolled: 2-line block ×9, first 2 shown]
	v_sub_f32_e32 v12, v30, v12
	v_sub_f32_e32 v13, v31, v13
	;; [unrolled: 1-line block ×12, first 2 shown]
	v_fma_f32 v27, v30, 2.0, -v12
	v_fma_f32 v28, v31, 2.0, -v13
	;; [unrolled: 1-line block ×8, first 2 shown]
	v_add_f32_e32 v43, v13, v17
	v_fma_f32 v15, v15, 2.0, -v19
	v_fma_f32 v17, v41, 2.0, -v25
	v_add_f32_e32 v47, v22, v19
	v_fma_f32 v16, v16, 2.0, -v20
	v_fma_f32 v19, v44, 2.0, -v26
	v_sub_f32_e32 v42, v12, v24
	v_sub_f32_e32 v46, v14, v25
	;; [unrolled: 1-line block ×3, first 2 shown]
	v_add_f32_e32 v51, v23, v20
	v_sub_f32_e32 v40, v27, v21
	v_sub_f32_e32 v41, v28, v33
	;; [unrolled: 1-line block ×6, first 2 shown]
	v_fma_f32 v38, v12, 2.0, -v42
	v_fma_f32 v39, v13, 2.0, -v43
	;; [unrolled: 1-line block ×12, first 2 shown]
	ds_write2_b64 v104, v[40:41], v[42:43] offset0:6 offset1:9
	ds_write2_b64 v104, v[36:37], v[38:39] offset1:3
	ds_write2_b64 v103, v[52:53], v[54:55] offset1:3
	ds_write2_b64 v103, v[44:45], v[46:47] offset0:6 offset1:9
	ds_write2_b64 v102, v[56:57], v[58:59] offset1:3
	ds_write2_b64 v102, v[48:49], v[50:51] offset0:6 offset1:9
	s_waitcnt lgkmcnt(0)
	s_barrier
	buffer_gl0_inv
	s_and_saveexec_b32 s0, vcc_lo
	s_cbranch_execz .LBB0_3
; %bb.2:
	ds_read2_b64 v[36:39], v96 offset1:12
	ds_read2_b64 v[40:43], v96 offset0:24 offset1:36
	ds_read2_b64 v[52:55], v96 offset0:48 offset1:60
	;; [unrolled: 1-line block ×5, first 2 shown]
	ds_read_b64 v[93:94], v96 offset:1152
.LBB0_3:
	s_or_b32 exec_lo, exec_lo, s0
	v_add_nc_u32_e32 v12, -12, v95
	v_cndmask_b32_e32 v12, v12, v95, vcc_lo
	v_mul_i32_i24_e32 v13, 0x60, v12
	v_mul_hi_i32_i24_e32 v12, 0x60, v12
	v_add_co_u32 v32, s0, s14, v13
	v_add_co_ci_u32_e64 v33, s0, s15, v12, s0
	s_clause 0x5
	global_load_dwordx4 v[24:27], v[32:33], off offset:72
	global_load_dwordx4 v[20:23], v[32:33], off offset:88
	;; [unrolled: 1-line block ×6, first 2 shown]
	s_waitcnt vmcnt(5) lgkmcnt(6)
	v_mul_f32_e32 v116, v39, v25
	v_mul_f32_e32 v117, v38, v25
	s_waitcnt vmcnt(3) lgkmcnt(4)
	v_mul_f32_e32 v112, v54, v13
	v_mul_f32_e32 v118, v41, v27
	v_mul_f32_e32 v115, v40, v27
	s_waitcnt vmcnt(0) lgkmcnt(0)
	v_mul_f32_e32 v132, v94, v35
	v_mul_f32_e32 v106, v93, v35
	;; [unrolled: 1-line block ×6, first 2 shown]
	v_fma_f32 v124, v38, v24, -v116
	v_fmac_f32_e32 v117, v39, v24
	v_fmac_f32_e32 v112, v55, v12
	v_fma_f32 v55, v93, v34, -v132
	v_fmac_f32_e32 v106, v94, v34
	v_mul_f32_e32 v119, v43, v21
	v_mul_f32_e32 v114, v42, v21
	;; [unrolled: 1-line block ×6, first 2 shown]
	v_fma_f32 v123, v40, v26, -v118
	v_fmac_f32_e32 v115, v41, v26
	v_fma_f32 v116, v56, v18, -v128
	v_fma_f32 v56, v50, v32, -v131
	v_fmac_f32_e32 v105, v51, v32
	v_sub_f32_e32 v140, v124, v55
	v_sub_f32_e32 v131, v117, v106
	v_mul_f32_e32 v113, v52, v23
	v_mul_f32_e32 v111, v44, v15
	v_mul_f32_e32 v129, v59, v29
	v_mul_f32_e32 v108, v58, v29
	v_fma_f32 v122, v42, v20, -v119
	v_fmac_f32_e32 v114, v43, v20
	v_fma_f32 v121, v52, v22, -v120
	v_fmac_f32_e32 v109, v57, v18
	v_fma_f32 v57, v48, v30, -v130
	v_fmac_f32_e32 v107, v49, v30
	v_add_f32_e32 v42, v124, v55
	v_add_f32_e32 v52, v117, v106
	v_sub_f32_e32 v144, v123, v56
	v_sub_f32_e32 v132, v115, v105
	v_mul_f32_e32 v130, 0xbeedf032, v131
	v_mul_f32_e32 v150, 0xbeedf032, v140
	v_mul_f32_e32 v126, v45, v15
	v_mul_f32_e32 v110, v46, v17
	v_fmac_f32_e32 v113, v53, v22
	v_fmac_f32_e32 v111, v45, v14
	v_fma_f32 v58, v58, v28, -v129
	v_fmac_f32_e32 v108, v59, v28
	v_add_f32_e32 v43, v123, v56
	v_add_f32_e32 v45, v115, v105
	v_sub_f32_e32 v146, v122, v57
	v_sub_f32_e32 v134, v114, v107
	v_mul_f32_e32 v129, 0xbf52af12, v132
	v_mul_f32_e32 v149, 0xbf52af12, v144
	v_fmamk_f32 v38, v42, 0x3f62ad3f, v130
	v_fma_f32 v39, 0x3f62ad3f, v52, -v150
	v_mul_f32_e32 v127, v47, v17
	v_fma_f32 v120, v54, v12, -v125
	v_fma_f32 v119, v44, v14, -v126
	v_fmac_f32_e32 v110, v47, v16
	v_add_f32_e32 v44, v122, v57
	v_add_f32_e32 v47, v114, v107
	v_sub_f32_e32 v139, v121, v58
	v_sub_f32_e32 v136, v113, v108
	v_mul_f32_e32 v128, 0xbf7e222b, v134
	v_mul_f32_e32 v137, 0xbf7e222b, v146
	v_fmamk_f32 v40, v43, 0x3f116cb1, v129
	v_fma_f32 v41, 0x3f116cb1, v45, -v149
	v_add_f32_e32 v38, v36, v38
	v_add_f32_e32 v39, v37, v39
	v_fma_f32 v118, v46, v16, -v127
	v_add_f32_e32 v46, v121, v58
	v_add_f32_e32 v51, v113, v108
	v_sub_f32_e32 v143, v120, v116
	v_sub_f32_e32 v93, v112, v109
	v_mul_f32_e32 v126, 0xbf6f5d39, v136
	v_mul_f32_e32 v133, 0xbf6f5d39, v139
	v_fmamk_f32 v48, v44, 0x3df6dbef, v128
	v_fma_f32 v49, 0x3df6dbef, v47, -v137
	v_add_f32_e32 v38, v40, v38
	v_add_f32_e32 v39, v41, v39
	;; [unrolled: 1-line block ×4, first 2 shown]
	v_sub_f32_e32 v125, v111, v110
	v_sub_f32_e32 v151, v119, v118
	v_mul_f32_e32 v94, 0xbf29c268, v93
	v_mul_f32_e32 v135, 0xbf29c268, v143
	v_fmamk_f32 v40, v46, 0xbeb58ec6, v126
	v_fma_f32 v41, 0xbeb58ec6, v51, -v133
	v_add_f32_e32 v38, v48, v38
	v_add_f32_e32 v39, v49, v39
	;; [unrolled: 1-line block ×4, first 2 shown]
	v_mul_f32_e32 v127, 0xbe750f2a, v125
	v_mul_f32_e32 v138, 0xbe750f2a, v151
	v_fmamk_f32 v48, v50, 0xbf3f9e67, v94
	v_fma_f32 v49, 0xbf3f9e67, v54, -v135
	v_add_f32_e32 v38, v40, v38
	v_add_f32_e32 v39, v41, v39
	v_fmamk_f32 v40, v53, 0xbf788fa5, v127
	v_fma_f32 v41, 0xbf788fa5, v59, -v138
	v_add_f32_e32 v38, v48, v38
	v_add_f32_e32 v39, v49, v39
	;; [unrolled: 1-line block ×4, first 2 shown]
	s_and_saveexec_b32 s0, vcc_lo
	s_cbranch_execz .LBB0_5
; %bb.4:
	v_mul_f32_e32 v158, 0x3df6dbef, v52
	v_mul_f32_e32 v164, 0xbf788fa5, v45
	;; [unrolled: 1-line block ×5, first 2 shown]
	v_fmamk_f32 v38, v140, 0x3f7e222b, v158
	v_fmamk_f32 v39, v144, 0x3e750f2a, v164
	v_mul_f32_e32 v171, 0xbe750f2a, v132
	v_fmamk_f32 v40, v42, 0x3df6dbef, v168
	v_mul_f32_e32 v172, 0x3f116cb1, v54
	v_add_f32_e32 v38, v37, v38
	v_mul_f32_e32 v173, 0x3f6f5d39, v134
	v_fmamk_f32 v41, v43, 0xbf788fa5, v171
	v_add_f32_e32 v40, v36, v40
	v_mul_f32_e32 v174, 0xbf3f9e67, v59
	v_add_f32_e32 v38, v39, v38
	v_fmamk_f32 v39, v146, 0xbf6f5d39, v166
	v_mul_f32_e32 v175, 0x3eedf032, v136
	v_add_f32_e32 v40, v41, v40
	v_fmamk_f32 v41, v44, 0xbeb58ec6, v173
	;; [unrolled: 3-line block ×6, first 2 shown]
	v_fmamk_f32 v152, v144, 0xbf29c268, v157
	v_add_f32_e32 v38, v39, v38
	v_fmamk_f32 v39, v151, 0x3f29c268, v174
	v_mul_f32_e32 v159, 0x3f62ad3f, v47
	v_add_f32_e32 v40, v41, v40
	v_fmamk_f32 v41, v53, 0xbf3f9e67, v177
	v_mul_f32_e32 v178, 0xbf6f5d39, v131
	v_add_f32_e32 v39, v39, v38
	v_fmamk_f32 v38, v140, 0x3f6f5d39, v156
	v_fmamk_f32 v153, v146, 0xbeedf032, v159
	v_mul_f32_e32 v179, 0x3df6dbef, v51
	v_mul_f32_e32 v180, 0x3f29c268, v132
	;; [unrolled: 1-line block ×3, first 2 shown]
	v_add_f32_e32 v38, v37, v38
	v_mul_f32_e32 v182, 0x3eedf032, v134
	v_mul_f32_e32 v183, 0x3f116cb1, v59
	;; [unrolled: 1-line block ×4, first 2 shown]
	v_add_f32_e32 v152, v152, v38
	v_add_f32_e32 v38, v41, v40
	v_fmamk_f32 v40, v42, 0xbeb58ec6, v178
	v_mul_f32_e32 v185, 0x3e750f2a, v93
	v_mul_f32_e32 v186, 0x3df6dbef, v45
	v_add_f32_e32 v41, v153, v152
	v_fmamk_f32 v152, v139, 0x3f7e222b, v179
	v_add_f32_e32 v40, v36, v40
	v_fmamk_f32 v153, v43, 0xbf3f9e67, v180
	v_mul_f32_e32 v187, 0x3f52af12, v125
	v_fmamk_f32 v155, v144, 0xbf7e222b, v186
	v_add_f32_e32 v41, v152, v41
	v_fmamk_f32 v152, v143, 0xbe750f2a, v181
	v_add_f32_e32 v40, v153, v40
	v_fmamk_f32 v153, v44, 0x3f62ad3f, v182
	v_mul_f32_e32 v188, 0x3f116cb1, v47
	v_mul_f32_e32 v189, 0xbf29c268, v131
	v_add_f32_e32 v41, v152, v41
	v_fmamk_f32 v152, v151, 0xbf52af12, v183
	v_add_f32_e32 v40, v153, v40
	v_fmamk_f32 v153, v46, 0x3df6dbef, v184
	v_mul_f32_e32 v190, 0xbf788fa5, v51
	v_mul_f32_e32 v191, 0x3f7e222b, v132
	v_add_f32_e32 v41, v152, v41
	v_fmamk_f32 v152, v140, 0x3f29c268, v154
	v_add_f32_e32 v40, v153, v40
	v_fmamk_f32 v153, v50, 0xbf788fa5, v185
	v_mul_f32_e32 v192, 0x3f62ad3f, v54
	v_fmamk_f32 v193, v43, 0x3df6dbef, v191
	v_add_f32_e32 v152, v37, v152
	v_mul_f32_e32 v194, 0xbf52af12, v134
	v_add_f32_e32 v40, v153, v40
	v_fmamk_f32 v153, v53, 0x3f116cb1, v187
	v_mul_f32_e32 v195, 0xbeb58ec6, v59
	v_add_f32_e32 v152, v155, v152
	v_fmamk_f32 v155, v146, 0x3f52af12, v188
	;; [unrolled: 3-line block ×4, first 2 shown]
	v_fmamk_f32 v198, v46, 0xbf788fa5, v196
	v_add_f32_e32 v153, v36, v153
	v_mul_f32_e32 v199, 0x3eedf032, v93
	v_mul_f32_e32 v200, 0x3eedf032, v144
	v_add_f32_e32 v152, v155, v152
	v_fmamk_f32 v155, v143, 0xbeedf032, v192
	v_add_f32_e32 v153, v193, v153
	v_fmamk_f32 v193, v44, 0x3f116cb1, v194
	v_fmamk_f32 v201, v45, 0x3f62ad3f, v200
	v_mul_f32_e32 v202, 0xbf29c268, v146
	v_add_f32_e32 v152, v155, v152
	v_fmamk_f32 v155, v151, 0x3f6f5d39, v195
	v_add_f32_e32 v193, v193, v153
	v_mul_f32_e32 v203, 0xbe750f2a, v131
	v_fmamk_f32 v204, v47, 0xbf3f9e67, v202
	v_mul_f32_e32 v205, 0x3f52af12, v139
	v_add_f32_e32 v153, v155, v152
	v_fmamk_f32 v152, v52, 0xbf788fa5, v197
	v_add_f32_e32 v155, v198, v193
	v_fmamk_f32 v193, v50, 0x3f62ad3f, v199
	v_mul_f32_e32 v198, 0xbf6f5d39, v125
	v_mul_f32_e32 v206, 0xbf6f5d39, v143
	v_add_f32_e32 v152, v37, v152
	v_mul_f32_e32 v208, 0xbf29c268, v134
	v_add_f32_e32 v155, v193, v155
	v_fmamk_f32 v193, v53, 0xbeb58ec6, v198
	v_mul_f32_e32 v209, 0x3f7e222b, v151
	v_add_f32_e32 v201, v201, v152
	v_mul_f32_e32 v210, 0x3f52af12, v136
	v_fmac_f32_e32 v154, 0xbf29c268, v140
	v_add_f32_e32 v152, v193, v155
	v_fma_f32 v155, 0xbf788fa5, v42, -v203
	v_mul_f32_e32 v193, 0x3eedf032, v132
	v_add_f32_e32 v201, v204, v201
	v_fmamk_f32 v204, v51, 0x3f116cb1, v205
	v_fma_f32 v211, 0x3f116cb1, v46, -v210
	v_add_f32_e32 v155, v36, v155
	v_fma_f32 v207, 0x3f62ad3f, v43, -v193
	v_mul_f32_e32 v212, 0xbf6f5d39, v93
	v_add_f32_e32 v201, v204, v201
	v_fmamk_f32 v204, v54, 0xbeb58ec6, v206
	v_add_f32_e32 v154, v37, v154
	v_add_f32_e32 v155, v207, v155
	v_fma_f32 v207, 0xbf3f9e67, v44, -v208
	v_fmac_f32_e32 v186, 0x3f7e222b, v144
	v_add_f32_e32 v201, v204, v201
	v_fmamk_f32 v204, v59, 0x3df6dbef, v209
	v_fma_f32 v189, 0xbf3f9e67, v42, -v189
	v_add_f32_e32 v207, v207, v155
	v_add_f32_e32 v154, v186, v154
	v_fmac_f32_e32 v188, 0xbf52af12, v146
	v_add_f32_e32 v155, v204, v201
	v_fma_f32 v204, 0xbeb58ec6, v50, -v212
	v_add_f32_e32 v201, v211, v207
	v_mul_f32_e32 v207, 0x3f7e222b, v125
	v_add_f32_e32 v189, v36, v189
	v_fma_f32 v191, 0x3df6dbef, v43, -v191
	v_add_f32_e32 v188, v188, v154
	v_add_f32_e32 v186, v204, v201
	v_fma_f32 v201, 0x3df6dbef, v53, -v207
	v_fmac_f32_e32 v156, 0xbf6f5d39, v140
	v_fmac_f32_e32 v157, 0x3f29c268, v144
	;; [unrolled: 1-line block ×3, first 2 shown]
	v_fma_f32 v178, 0xbeb58ec6, v42, -v178
	v_add_f32_e32 v154, v201, v186
	v_add_f32_e32 v186, v191, v189
	v_fma_f32 v189, 0x3f116cb1, v44, -v194
	v_add_f32_e32 v156, v37, v156
	v_fmac_f32_e32 v179, 0xbf7e222b, v139
	v_add_f32_e32 v178, v36, v178
	v_fma_f32 v180, 0xbf3f9e67, v43, -v180
	v_add_f32_e32 v186, v189, v186
	v_fma_f32 v189, 0xbf788fa5, v46, -v196
	v_add_f32_e32 v156, v157, v156
	v_fmac_f32_e32 v158, 0xbf7e222b, v140
	v_fmac_f32_e32 v164, 0xbe750f2a, v144
	v_fma_f32 v168, 0x3df6dbef, v42, -v168
	v_add_f32_e32 v186, v189, v186
	v_fma_f32 v189, 0x3f62ad3f, v50, -v199
	v_add_f32_e32 v156, v159, v156
	v_add_f32_e32 v158, v37, v158
	v_fmac_f32_e32 v166, 0x3f6f5d39, v146
	v_add_f32_e32 v168, v36, v168
	v_add_f32_e32 v159, v189, v186
	v_fma_f32 v186, 0xbeb58ec6, v53, -v198
	v_add_f32_e32 v179, v179, v156
	v_add_f32_e32 v158, v164, v158
	v_fma_f32 v171, 0xbf788fa5, v43, -v171
	v_fmac_f32_e32 v169, 0x3eedf032, v139
	v_add_f32_e32 v156, v186, v159
	v_add_f32_e32 v159, v180, v178
	v_fma_f32 v178, 0x3f62ad3f, v44, -v182
	v_fma_f32 v180, 0x3df6dbef, v46, -v184
	v_add_f32_e32 v158, v166, v158
	v_fma_f32 v166, 0x3f116cb1, v53, -v187
	v_add_f32_e32 v168, v171, v168
	v_add_f32_e32 v178, v178, v159
	v_fma_f32 v171, 0xbeb58ec6, v44, -v173
	v_mul_f32_e32 v173, 0xbf52af12, v140
	v_add_f32_e32 v169, v169, v158
	v_fmac_f32_e32 v172, 0xbf52af12, v143
	v_add_f32_e32 v164, v180, v178
	v_fma_f32 v178, 0xbf788fa5, v50, -v185
	v_add_f32_e32 v140, v171, v168
	v_fmamk_f32 v168, v52, 0x3f116cb1, v173
	v_mul_f32_e32 v144, 0xbf6f5d39, v144
	v_fmac_f32_e32 v174, 0xbf29c268, v151
	v_add_f32_e32 v164, v178, v164
	v_mul_f32_e32 v146, 0xbe750f2a, v146
	v_add_f32_e32 v168, v37, v168
	v_fmamk_f32 v171, v45, 0xbeb58ec6, v144
	v_fmac_f32_e32 v192, 0x3eedf032, v143
	v_add_f32_e32 v158, v166, v164
	v_fma_f32 v164, 0x3f62ad3f, v46, -v175
	v_add_f32_e32 v166, v172, v169
	v_fma_f32 v169, 0x3f116cb1, v50, -v176
	v_fmac_f32_e32 v181, 0x3e750f2a, v143
	v_mul_f32_e32 v172, 0xbf6f5d39, v132
	v_add_f32_e32 v164, v164, v140
	v_add_f32_e32 v140, v174, v166
	v_mul_f32_e32 v166, 0xbf52af12, v131
	v_add_f32_e32 v131, v171, v168
	v_fmamk_f32 v168, v47, 0xbf788fa5, v146
	v_add_f32_e32 v164, v169, v164
	v_mul_f32_e32 v169, 0x3f29c268, v139
	v_mul_f32_e32 v143, 0x3f7e222b, v143
	v_add_f32_e32 v117, v37, v117
	v_add_f32_e32 v131, v168, v131
	;; [unrolled: 1-line block ×3, first 2 shown]
	v_fmamk_f32 v132, v51, 0xbf3f9e67, v169
	v_mul_f32_e32 v160, 0x3f62ad3f, v52
	v_fmac_f32_e32 v195, 0xbf6f5d39, v151
	v_fmac_f32_e32 v183, 0x3f52af12, v151
	v_mul_f32_e32 v151, 0x3eedf032, v151
	v_add_f32_e32 v131, v132, v131
	v_fmamk_f32 v132, v54, 0x3df6dbef, v143
	v_add_f32_e32 v115, v117, v115
	v_add_f32_e32 v117, v124, v123
	v_mul_f32_e32 v162, 0x3f116cb1, v45
	v_add_f32_e32 v150, v150, v160
	v_add_f32_e32 v131, v132, v131
	v_fmamk_f32 v132, v59, 0x3f62ad3f, v151
	v_add_f32_e32 v114, v115, v114
	v_add_f32_e32 v115, v117, v122
	v_mul_f32_e32 v163, 0x3df6dbef, v47
	v_add_f32_e32 v149, v149, v162
	v_add_f32_e32 v132, v132, v131
	;; [unrolled: 1-line block ×5, first 2 shown]
	v_mul_f32_e32 v165, 0xbeb58ec6, v51
	v_add_f32_e32 v137, v137, v163
	v_add_f32_e32 v131, v149, v131
	;; [unrolled: 1-line block ×4, first 2 shown]
	v_mul_f32_e32 v148, 0x3f62ad3f, v42
	v_mul_f32_e32 v167, 0xbf3f9e67, v54
	v_mul_f32_e32 v124, 0x3eedf032, v125
	v_add_f32_e32 v125, v137, v131
	v_add_f32_e32 v117, v133, v165
	;; [unrolled: 1-line block ×4, first 2 shown]
	v_mul_f32_e32 v161, 0x3f116cb1, v43
	v_mul_f32_e32 v170, 0xbf788fa5, v59
	v_fma_f32 v171, 0x3f116cb1, v42, -v166
	v_add_f32_e32 v115, v117, v125
	v_add_f32_e32 v117, v135, v167
	v_sub_f32_e32 v114, v148, v130
	v_add_f32_e32 v110, v112, v110
	v_add_f32_e32 v112, v113, v118
	v_fma_f32 v113, 0xbf788fa5, v52, -v197
	v_fmac_f32_e32 v203, 0xbf788fa5, v42
	v_fma_f32 v52, 0x3f116cb1, v52, -v173
	v_fmac_f32_e32 v166, 0x3f116cb1, v42
	v_mul_f32_e32 v147, 0x3df6dbef, v44
	v_add_f32_e32 v168, v36, v171
	v_fma_f32 v171, 0xbeb58ec6, v43, -v172
	v_mul_f32_e32 v134, 0xbe750f2a, v134
	v_add_f32_e32 v115, v117, v115
	v_add_f32_e32 v117, v138, v170
	;; [unrolled: 1-line block ×3, first 2 shown]
	v_sub_f32_e32 v119, v161, v129
	v_add_f32_e32 v109, v110, v109
	v_add_f32_e32 v110, v112, v116
	;; [unrolled: 1-line block ×3, first 2 shown]
	v_fma_f32 v113, 0x3f62ad3f, v45, -v200
	v_add_f32_e32 v42, v36, v203
	v_fmac_f32_e32 v193, 0x3f62ad3f, v43
	v_add_f32_e32 v37, v37, v52
	v_fma_f32 v45, 0xbeb58ec6, v45, -v144
	v_add_f32_e32 v36, v36, v166
	v_fmac_f32_e32 v172, 0xbeb58ec6, v43
	v_mul_f32_e32 v145, 0xbeb58ec6, v46
	v_add_f32_e32 v168, v171, v168
	v_fma_f32 v171, 0xbf788fa5, v44, -v134
	v_mul_f32_e32 v136, 0x3f29c268, v136
	v_add_f32_e32 v111, v117, v115
	v_add_f32_e32 v114, v119, v114
	v_sub_f32_e32 v115, v147, v128
	v_add_f32_e32 v108, v109, v108
	v_add_f32_e32 v58, v110, v58
	;; [unrolled: 1-line block ×3, first 2 shown]
	v_fma_f32 v110, 0xbf3f9e67, v47, -v202
	v_add_f32_e32 v42, v193, v42
	v_fmac_f32_e32 v208, 0xbf3f9e67, v44
	v_add_f32_e32 v37, v45, v37
	v_fma_f32 v43, 0xbf788fa5, v47, -v146
	v_add_f32_e32 v36, v172, v36
	v_fmac_f32_e32 v134, 0xbf788fa5, v44
	v_mul_f32_e32 v141, 0xbf3f9e67, v50
	v_add_f32_e32 v160, v171, v168
	v_fma_f32 v168, 0xbf3f9e67, v46, -v136
	v_mul_f32_e32 v93, 0x3f7e222b, v93
	v_add_f32_e32 v114, v115, v114
	v_sub_f32_e32 v115, v145, v126
	v_fmac_f32_e32 v190, 0x3e750f2a, v139
	v_add_f32_e32 v107, v108, v107
	v_add_f32_e32 v57, v58, v57
	v_add_f32_e32 v58, v110, v109
	v_fma_f32 v108, 0x3f116cb1, v51, -v205
	v_add_f32_e32 v42, v208, v42
	v_fmac_f32_e32 v210, 0x3f116cb1, v46
	v_add_f32_e32 v37, v43, v37
	v_fma_f32 v43, 0xbf3f9e67, v51, -v169
	v_add_f32_e32 v36, v134, v36
	v_fmac_f32_e32 v136, 0xbf3f9e67, v46
	v_mul_f32_e32 v142, 0xbf788fa5, v53
	v_add_f32_e32 v150, v168, v160
	v_fma_f32 v123, 0x3df6dbef, v50, -v93
	v_add_f32_e32 v112, v115, v114
	v_sub_f32_e32 v94, v141, v94
	v_add_f32_e32 v188, v190, v188
	v_add_f32_e32 v105, v107, v105
	;; [unrolled: 1-line block ×4, first 2 shown]
	v_fma_f32 v107, 0xbeb58ec6, v54, -v206
	v_add_f32_e32 v42, v210, v42
	v_fmac_f32_e32 v212, 0xbeb58ec6, v50
	v_add_f32_e32 v37, v43, v37
	v_fma_f32 v43, 0x3df6dbef, v54, -v143
	v_add_f32_e32 v36, v136, v36
	v_fmac_f32_e32 v93, 0x3df6dbef, v50
	v_add_f32_e32 v122, v123, v150
	v_fma_f32 v123, 0x3f62ad3f, v53, -v124
	v_add_f32_e32 v94, v94, v112
	v_sub_f32_e32 v109, v142, v127
	v_add_f32_e32 v179, v181, v179
	v_fma_f32 v139, 0xbf3f9e67, v53, -v177
	v_add_f32_e32 v188, v192, v188
	v_add_f32_e32 v55, v57, v55
	;; [unrolled: 1-line block ×3, first 2 shown]
	v_fma_f32 v58, 0x3df6dbef, v59, -v209
	v_add_f32_e32 v42, v212, v42
	v_fmac_f32_e32 v207, 0x3df6dbef, v53
	v_add_f32_e32 v56, v105, v106
	v_add_f32_e32 v43, v43, v37
	v_fma_f32 v44, 0x3f62ad3f, v59, -v151
	v_add_f32_e32 v45, v93, v36
	v_fmac_f32_e32 v124, 0x3f62ad3f, v53
	v_add_f32_e32 v131, v123, v122
	v_add_f32_e32 v110, v109, v94
	v_lshl_add_u32 v46, v95, 3, v97
	v_add_f32_e32 v159, v183, v179
	v_add_f32_e32 v139, v139, v164
	v_add_f32_e32 v157, v195, v188
	v_add_f32_e32 v37, v58, v57
	v_add_f32_e32 v36, v207, v42
	v_add_f32_e32 v43, v44, v43
	v_add_f32_e32 v42, v124, v45
	ds_write_b64 v96, v[55:56]
	ds_write2_b64 v46, v[110:111], v[131:132] offset0:12 offset1:24
	ds_write2_b64 v46, v[139:140], v[158:159] offset0:36 offset1:48
	;; [unrolled: 1-line block ×6, first 2 shown]
.LBB0_5:
	s_or_b32 exec_lo, exec_lo, s0
	s_waitcnt lgkmcnt(0)
	s_barrier
	buffer_gl0_inv
	global_load_dwordx2 v[58:59], v[91:92], off offset:1248
	v_lshlrev_b32_e32 v36, 3, v95
	s_add_u32 s0, s12, 0x4e0
	s_addc_u32 s1, s13, 0
	s_clause 0xa
	global_load_dwordx2 v[105:106], v36, s[0:1] offset:416
	global_load_dwordx2 v[107:108], v36, s[0:1] offset:832
	;; [unrolled: 1-line block ×11, first 2 shown]
	ds_read2_b64 v[36:39], v96 offset1:13
	ds_read2_b64 v[40:43], v96 offset0:52 offset1:65
	ds_read2_b64 v[44:47], v96 offset0:104 offset1:117
	;; [unrolled: 1-line block ×5, first 2 shown]
	s_waitcnt vmcnt(8) lgkmcnt(5)
	v_mul_f32_e32 v129, v39, v110
	s_waitcnt vmcnt(7) lgkmcnt(4)
	v_mul_f32_e32 v130, v43, v112
	v_mul_f32_e32 v127, v37, v59
	;; [unrolled: 1-line block ×3, first 2 shown]
	s_waitcnt lgkmcnt(3)
	v_mul_f32_e32 v59, v44, v108
	s_waitcnt vmcnt(6)
	v_mul_f32_e32 v131, v47, v114
	s_waitcnt vmcnt(5) lgkmcnt(2)
	v_mul_f32_e32 v132, v51, v116
	v_fma_f32 v127, v36, v58, -v127
	v_fmac_f32_e32 v128, v37, v58
	v_mul_f32_e32 v36, v41, v106
	v_mul_f32_e32 v37, v40, v106
	v_mul_f32_e32 v106, v38, v110
	v_mul_f32_e32 v58, v45, v108
	v_mul_f32_e32 v108, v42, v112
	v_mul_f32_e32 v110, v46, v114
	v_mul_f32_e32 v112, v50, v116
	s_waitcnt vmcnt(4) lgkmcnt(1)
	v_mul_f32_e32 v133, v55, v118
	v_mul_f32_e32 v114, v54, v118
	s_waitcnt vmcnt(2)
	v_mul_f32_e32 v135, v53, v122
	v_mul_f32_e32 v118, v52, v122
	s_waitcnt lgkmcnt(0)
	v_mul_f32_e32 v134, v92, v120
	v_mul_f32_e32 v116, v91, v120
	s_waitcnt vmcnt(1)
	v_mul_f32_e32 v136, v57, v124
	v_mul_f32_e32 v120, v56, v124
	s_waitcnt vmcnt(0)
	v_mul_f32_e32 v124, v94, v126
	v_mul_f32_e32 v122, v93, v126
	v_fma_f32 v36, v40, v105, -v36
	v_fmac_f32_e32 v37, v41, v105
	v_fma_f32 v105, v38, v109, -v129
	v_fmac_f32_e32 v106, v39, v109
	;; [unrolled: 2-line block ×11, first 2 shown]
	ds_write2_b64 v96, v[127:128], v[105:106] offset1:13
	ds_write2_b64 v96, v[36:37], v[107:108] offset0:52 offset1:65
	ds_write2_b64 v96, v[58:59], v[109:110] offset0:104 offset1:117
	;; [unrolled: 1-line block ×5, first 2 shown]
	s_waitcnt lgkmcnt(0)
	s_barrier
	buffer_gl0_inv
	ds_read2_b64 v[36:39], v96 offset1:13
	ds_read2_b64 v[40:43], v96 offset0:52 offset1:65
	ds_read2_b64 v[44:47], v96 offset0:104 offset1:117
	;; [unrolled: 1-line block ×5, first 2 shown]
	s_waitcnt lgkmcnt(0)
	s_barrier
	buffer_gl0_inv
	v_add_f32_e32 v109, v38, v42
	v_add_f32_e32 v59, v40, v44
	;; [unrolled: 1-line block ×7, first 2 shown]
	v_sub_f32_e32 v117, v55, v92
	v_add_f32_e32 v118, v51, v55
	v_add_f32_e32 v55, v55, v92
	;; [unrolled: 1-line block ×3, first 2 shown]
	v_sub_f32_e32 v121, v57, v94
	v_add_f32_e32 v122, v53, v57
	v_add_f32_e32 v57, v57, v94
	;; [unrolled: 1-line block ×3, first 2 shown]
	v_sub_f32_e32 v105, v41, v45
	v_add_f32_e32 v106, v37, v41
	v_sub_f32_e32 v108, v40, v44
	v_add_f32_e32 v115, v50, v54
	;; [unrolled: 2-line block ×3, first 2 shown]
	v_fma_f32 v36, -0.5, v59, v36
	v_fma_f32 v37, -0.5, v107, v37
	v_sub_f32_e32 v111, v43, v47
	v_sub_f32_e32 v114, v42, v46
	v_fma_f32 v38, -0.5, v110, v38
	v_fmac_f32_e32 v39, -0.5, v113
	v_sub_f32_e32 v123, v56, v93
	v_add_f32_e32 v42, v109, v46
	v_add_f32_e32 v43, v112, v47
	v_fma_f32 v46, -0.5, v116, v50
	v_fma_f32 v47, -0.5, v55, v51
	;; [unrolled: 1-line block ×3, first 2 shown]
	v_fmac_f32_e32 v53, -0.5, v57
	v_add_f32_e32 v40, v58, v44
	v_add_f32_e32 v41, v106, v45
	;; [unrolled: 1-line block ×3, first 2 shown]
	v_fmamk_f32 v54, v105, 0xbf5db3d7, v36
	v_fmamk_f32 v55, v108, 0x3f5db3d7, v37
	v_fmac_f32_e32 v36, 0x3f5db3d7, v105
	v_fmac_f32_e32 v37, 0xbf5db3d7, v108
	v_fmamk_f32 v56, v111, 0xbf5db3d7, v38
	v_fmamk_f32 v57, v114, 0x3f5db3d7, v39
	v_fmac_f32_e32 v38, 0x3f5db3d7, v111
	v_fmac_f32_e32 v39, 0xbf5db3d7, v114
	v_add_f32_e32 v44, v115, v91
	v_add_f32_e32 v45, v118, v92
	;; [unrolled: 1-line block ×3, first 2 shown]
	v_fmamk_f32 v58, v117, 0xbf5db3d7, v46
	v_fmac_f32_e32 v46, 0x3f5db3d7, v117
	v_fmamk_f32 v59, v119, 0x3f5db3d7, v47
	v_fmac_f32_e32 v47, 0xbf5db3d7, v119
	;; [unrolled: 2-line block ×4, first 2 shown]
	ds_write2_b64 v101, v[40:41], v[54:55] offset1:1
	ds_write_b64 v101, v[36:37] offset:16
	ds_write2_b64 v100, v[42:43], v[56:57] offset1:1
	ds_write_b64 v100, v[38:39] offset:16
	ds_write2_b64 v99, v[44:45], v[58:59] offset1:1
	ds_write_b64 v99, v[46:47] offset:16
	ds_write2_b64 v98, v[50:51], v[91:92] offset1:1
	ds_write_b64 v98, v[52:53] offset:16
	s_waitcnt lgkmcnt(0)
	s_barrier
	buffer_gl0_inv
	ds_read2_b64 v[36:39], v96 offset0:26 offset1:39
	ds_read2_b64 v[40:43], v96 offset0:78 offset1:91
	;; [unrolled: 1-line block ×5, first 2 shown]
	ds_read2_b64 v[91:94], v96 offset1:13
	s_waitcnt lgkmcnt(0)
	s_barrier
	buffer_gl0_inv
	v_mul_f32_e32 v58, v9, v39
	v_mul_f32_e32 v9, v9, v38
	;; [unrolled: 1-line block ×18, first 2 shown]
	v_fmac_f32_e32 v58, v8, v38
	v_fma_f32 v8, v8, v39, -v9
	v_fmac_f32_e32 v59, v10, v40
	v_fma_f32 v9, v10, v41, -v11
	;; [unrolled: 2-line block ×9, first 2 shown]
	v_sub_f32_e32 v3, v91, v59
	v_sub_f32_e32 v9, v92, v9
	;; [unrolled: 1-line block ×12, first 2 shown]
	v_fma_f32 v50, v91, 2.0, -v3
	v_fma_f32 v51, v92, 2.0, -v9
	v_fma_f32 v43, v58, 2.0, -v7
	v_fma_f32 v8, v8, 2.0, -v10
	v_add_f32_e32 v38, v3, v10
	v_fma_f32 v52, v93, 2.0, -v11
	v_fma_f32 v53, v94, 2.0, -v40
	;; [unrolled: 1-line block ×8, first 2 shown]
	v_sub_f32_e32 v39, v9, v7
	v_add_f32_e32 v6, v11, v6
	v_sub_f32_e32 v7, v40, v5
	v_add_f32_e32 v46, v41, v2
	v_sub_f32_e32 v47, v1, v42
	v_sub_f32_e32 v36, v50, v43
	;; [unrolled: 1-line block ×7, first 2 shown]
	v_fma_f32 v2, v3, 2.0, -v38
	v_fma_f32 v3, v9, 2.0, -v39
	;; [unrolled: 1-line block ×12, first 2 shown]
	ds_write2_b64 v104, v[36:37], v[38:39] offset0:6 offset1:9
	ds_write2_b64 v104, v[0:1], v[2:3] offset1:3
	ds_write2_b64 v103, v[8:9], v[10:11] offset1:3
	ds_write2_b64 v103, v[4:5], v[6:7] offset0:6 offset1:9
	ds_write2_b64 v102, v[40:41], v[42:43] offset1:3
	ds_write2_b64 v102, v[44:45], v[46:47] offset0:6 offset1:9
	s_waitcnt lgkmcnt(0)
	s_barrier
	buffer_gl0_inv
	s_and_saveexec_b32 s0, vcc_lo
	s_cbranch_execz .LBB0_7
; %bb.6:
	ds_read2_b64 v[0:3], v96 offset1:12
	ds_read2_b64 v[36:39], v96 offset0:24 offset1:36
	ds_read2_b64 v[8:11], v96 offset0:48 offset1:60
	;; [unrolled: 1-line block ×5, first 2 shown]
	ds_read_b64 v[48:49], v96 offset:1152
.LBB0_7:
	s_or_b32 exec_lo, exec_lo, s0
	s_and_saveexec_b32 s0, vcc_lo
	s_cbranch_execz .LBB0_9
; %bb.8:
	s_waitcnt lgkmcnt(6)
	v_mul_f32_e32 v51, v25, v3
	s_waitcnt lgkmcnt(0)
	v_mul_f32_e32 v50, v35, v49
	v_mul_f32_e32 v52, v35, v48
	;; [unrolled: 1-line block ×4, first 2 shown]
	v_fmac_f32_e32 v51, v24, v2
	v_fmac_f32_e32 v50, v34, v48
	v_mul_f32_e32 v48, v27, v37
	v_fma_f32 v34, v34, v49, -v52
	v_fma_f32 v49, v24, v3, -v25
	v_mul_f32_e32 v2, v33, v46
	v_mul_f32_e32 v3, v27, v36
	v_sub_f32_e32 v25, v51, v50
	v_fmac_f32_e32 v48, v26, v36
	v_fmac_f32_e32 v35, v32, v46
	v_mul_f32_e32 v33, v21, v39
	v_mul_f32_e32 v27, v31, v45
	v_fma_f32 v32, v32, v47, -v2
	v_fma_f32 v36, v26, v37, -v3
	v_mul_f32_e32 v2, v31, v44
	v_mul_f32_e32 v3, v21, v38
	v_add_f32_e32 v46, v34, v49
	v_mul_f32_e32 v52, 0xbf7e222b, v25
	v_sub_f32_e32 v24, v48, v35
	v_fmac_f32_e32 v33, v20, v38
	v_fmac_f32_e32 v27, v30, v44
	v_fma_f32 v26, v30, v45, -v2
	v_fma_f32 v31, v20, v39, -v3
	v_mul_f32_e32 v30, v23, v9
	v_mul_f32_e32 v20, v29, v43
	v_fmamk_f32 v53, v46, 0x3df6dbef, v52
	v_mul_f32_e32 v44, 0xbe750f2a, v24
	v_add_f32_e32 v47, v32, v36
	v_sub_f32_e32 v21, v33, v27
	v_fmac_f32_e32 v30, v22, v8
	v_fmac_f32_e32 v20, v28, v42
	v_mul_f32_e32 v37, v29, v42
	v_mul_f32_e32 v38, v23, v8
	;; [unrolled: 1-line block ×4, first 2 shown]
	v_add_f32_e32 v2, v1, v53
	v_fmamk_f32 v3, v47, 0xbf788fa5, v44
	v_mul_f32_e32 v53, 0x3f6f5d39, v21
	v_add_f32_e32 v54, v26, v31
	v_sub_f32_e32 v8, v30, v20
	v_fma_f32 v28, v28, v43, -v37
	v_fma_f32 v37, v22, v9, -v38
	v_fmac_f32_e32 v29, v12, v10
	v_fmac_f32_e32 v23, v18, v40
	v_mul_f32_e32 v19, v19, v40
	v_mul_f32_e32 v10, v13, v10
	v_add_f32_e32 v2, v3, v2
	v_fmamk_f32 v3, v54, 0xbeb58ec6, v53
	v_mul_f32_e32 v55, 0x3eedf032, v8
	v_add_f32_e32 v56, v28, v37
	v_sub_f32_e32 v9, v29, v23
	v_fma_f32 v18, v18, v41, -v19
	v_fma_f32 v38, v12, v11, -v10
	v_add_f32_e32 v2, v3, v2
	v_fmamk_f32 v3, v56, 0x3f62ad3f, v55
	v_mul_f32_e32 v57, 0xbf52af12, v9
	v_sub_f32_e32 v58, v49, v34
	v_add_f32_e32 v39, v18, v38
	v_mul_f32_e32 v22, v15, v5
	v_mul_f32_e32 v19, v17, v7
	v_add_f32_e32 v2, v3, v2
	v_add_f32_e32 v11, v50, v51
	v_fmamk_f32 v3, v39, 0x3f116cb1, v57
	v_mul_f32_e32 v59, 0xbf7e222b, v58
	v_sub_f32_e32 v85, v36, v32
	v_fmac_f32_e32 v22, v14, v4
	v_fmac_f32_e32 v19, v16, v6
	v_add_f32_e32 v2, v3, v2
	v_mul_f32_e32 v3, v17, v6
	v_mul_f32_e32 v4, v15, v4
	v_fma_f32 v6, 0x3df6dbef, v11, -v59
	v_add_f32_e32 v12, v35, v48
	v_mul_f32_e32 v17, 0xbe750f2a, v85
	v_sub_f32_e32 v87, v31, v26
	v_sub_f32_e32 v10, v22, v19
	v_fma_f32 v86, v16, v7, -v3
	v_fma_f32 v88, v14, v5, -v4
	v_add_f32_e32 v3, v0, v6
	v_fma_f32 v4, 0xbf788fa5, v12, -v17
	v_add_f32_e32 v13, v27, v33
	v_mul_f32_e32 v89, 0x3f6f5d39, v87
	v_sub_f32_e32 v91, v37, v28
	v_mul_f32_e32 v90, 0xbf29c268, v10
	v_add_f32_e32 v92, v86, v88
	v_add_f32_e32 v3, v4, v3
	v_fma_f32 v4, 0xbeb58ec6, v13, -v89
	v_add_f32_e32 v14, v20, v30
	v_mul_f32_e32 v93, 0x3eedf032, v91
	v_sub_f32_e32 v94, v38, v18
	v_fmamk_f32 v5, v92, 0xbf3f9e67, v90
	v_add_f32_e32 v4, v4, v3
	v_mul_f32_e32 v42, 0xbf6f5d39, v25
	v_fma_f32 v6, 0x3f62ad3f, v14, -v93
	v_add_f32_e32 v15, v23, v29
	v_mul_f32_e32 v98, 0xbf52af12, v94
	v_sub_f32_e32 v99, v88, v86
	v_add_f32_e32 v3, v5, v2
	v_add_f32_e32 v2, v6, v4
	v_fmamk_f32 v4, v46, 0xbeb58ec6, v42
	v_mul_f32_e32 v43, 0x3f29c268, v24
	v_fma_f32 v5, 0x3f116cb1, v15, -v98
	v_add_f32_e32 v16, v19, v22
	v_mul_f32_e32 v100, 0xbf29c268, v99
	v_add_f32_e32 v4, v1, v4
	v_fmamk_f32 v6, v47, 0xbf3f9e67, v43
	v_mul_f32_e32 v45, 0x3eedf032, v21
	v_add_f32_e32 v2, v5, v2
	v_fma_f32 v5, 0xbf3f9e67, v16, -v100
	v_mul_f32_e32 v101, 0xbf6f5d39, v58
	v_add_f32_e32 v4, v6, v4
	v_fmamk_f32 v6, v54, 0x3f62ad3f, v45
	v_mul_f32_e32 v102, 0xbf7e222b, v8
	v_add_f32_e32 v2, v5, v2
	v_fma_f32 v5, 0xbeb58ec6, v11, -v101
	;; [unrolled: 6-line block ×13, first 2 shown]
	v_mul_f32_e32 v126, 0xbe750f2a, v58
	v_add_f32_e32 v41, v124, v41
	v_fmamk_f32 v124, v21, 0x3f29c268, v125
	v_mul_f32_e32 v127, 0x3f116cb1, v56
	v_add_f32_e32 v6, v116, v6
	v_fmamk_f32 v116, v11, 0xbf788fa5, v126
	;; [unrolled: 3-line block ×4, first 2 shown]
	v_mul_f32_e32 v131, 0xbf29c268, v87
	v_fmac_f32_e32 v101, 0xbeb58ec6, v11
	v_add_f32_e32 v41, v124, v41
	v_fmamk_f32 v124, v9, 0x3f6f5d39, v129
	v_mul_f32_e32 v132, 0x3df6dbef, v92
	v_add_f32_e32 v116, v130, v116
	v_fmamk_f32 v130, v13, 0xbf3f9e67, v131
	v_mul_f32_e32 v133, 0x3f52af12, v91
	v_add_f32_e32 v101, v0, v101
	v_fmac_f32_e32 v103, 0xbf3f9e67, v12
	v_fma_f32 v52, 0x3df6dbef, v46, -v52
	v_add_f32_e32 v41, v124, v41
	v_fmamk_f32 v124, v10, 0xbf7e222b, v132
	v_fma_f32 v40, 0xbf3f9e67, v46, -v40
	v_add_f32_e32 v116, v130, v116
	v_fmamk_f32 v130, v14, 0x3f116cb1, v133
	v_mul_f32_e32 v134, 0xbf6f5d39, v94
	v_add_f32_e32 v101, v103, v101
	v_fmac_f32_e32 v105, 0x3f62ad3f, v13
	v_add_f32_e32 v52, v1, v52
	v_fma_f32 v44, 0xbf788fa5, v47, -v44
	v_add_f32_e32 v41, v124, v41
	v_add_f32_e32 v40, v1, v40
	v_fma_f32 v109, 0x3df6dbef, v47, -v109
	v_add_f32_e32 v116, v130, v116
	v_fmamk_f32 v124, v15, 0xbeb58ec6, v134
	v_mul_f32_e32 v130, 0x3f7e222b, v99
	v_fmac_f32_e32 v112, 0xbf3f9e67, v11
	v_add_f32_e32 v101, v105, v101
	v_fmac_f32_e32 v107, 0x3df6dbef, v14
	v_fmac_f32_e32 v59, 0x3df6dbef, v11
	v_add_f32_e32 v44, v44, v52
	v_fma_f32 v52, 0xbeb58ec6, v54, -v53
	v_add_f32_e32 v40, v109, v40
	v_fma_f32 v109, 0x3f116cb1, v54, -v111
	v_add_f32_e32 v111, v124, v116
	v_fmamk_f32 v116, v16, 0x3df6dbef, v130
	v_add_f32_e32 v112, v0, v112
	v_fmac_f32_e32 v115, 0x3df6dbef, v12
	v_fma_f32 v42, 0xbeb58ec6, v46, -v42
	v_add_f32_e32 v53, v107, v101
	v_fmac_f32_e32 v108, 0xbf788fa5, v15
	v_add_f32_e32 v59, v0, v59
	v_fmac_f32_e32 v17, 0xbf788fa5, v12
	v_add_f32_e32 v44, v52, v44
	v_fma_f32 v52, 0x3f62ad3f, v56, -v55
	v_add_f32_e32 v109, v109, v40
	v_add_f32_e32 v40, v116, v111
	;; [unrolled: 1-line block ×3, first 2 shown]
	v_fmac_f32_e32 v117, 0x3f116cb1, v13
	v_add_f32_e32 v42, v1, v42
	v_fma_f32 v43, 0xbf3f9e67, v47, -v43
	v_add_f32_e32 v53, v108, v53
	v_fmac_f32_e32 v110, 0x3f116cb1, v16
	v_add_f32_e32 v17, v17, v59
	v_fmac_f32_e32 v89, 0xbeb58ec6, v13
	v_add_f32_e32 v52, v52, v44
	v_fma_f32 v55, 0x3f116cb1, v39, -v57
	v_mul_f32_e32 v57, 0x3f116cb1, v46
	v_add_f32_e32 v111, v117, v111
	v_fmac_f32_e32 v119, 0xbf788fa5, v14
	v_add_f32_e32 v42, v43, v42
	v_fma_f32 v45, 0x3f62ad3f, v54, -v45
	v_add_f32_e32 v44, v110, v53
	v_add_f32_e32 v17, v89, v17
	v_fmac_f32_e32 v93, 0x3f62ad3f, v14
	v_add_f32_e32 v52, v55, v52
	v_fma_f32 v53, 0xbf3f9e67, v92, -v90
	v_fmamk_f32 v55, v25, 0x3f52af12, v57
	v_mul_f32_e32 v59, 0xbeb58ec6, v47
	v_add_f32_e32 v111, v119, v111
	v_fmac_f32_e32 v121, 0x3f62ad3f, v15
	v_add_f32_e32 v42, v45, v42
	v_fma_f32 v45, 0x3df6dbef, v56, -v102
	v_add_f32_e32 v17, v93, v17
	v_fmac_f32_e32 v98, 0x3f116cb1, v15
	v_add_f32_e32 v53, v53, v52
	v_add_f32_e32 v52, v1, v55
	v_fmamk_f32 v55, v24, 0x3f6f5d39, v59
	v_mul_f32_e32 v89, 0xbf788fa5, v54
	v_add_f32_e32 v102, v121, v111
	v_fmac_f32_e32 v123, 0xbeb58ec6, v16
	v_add_f32_e32 v45, v45, v42
	v_fma_f32 v104, 0xbf788fa5, v39, -v104
	v_add_f32_e32 v17, v98, v17
	v_fmac_f32_e32 v100, 0xbf3f9e67, v16
	v_mul_f32_e32 v90, 0xbf52af12, v58
	v_add_f32_e32 v55, v55, v52
	v_fmamk_f32 v93, v21, 0x3e750f2a, v89
	v_mul_f32_e32 v98, 0xbf3f9e67, v56
	v_add_f32_e32 v42, v123, v102
	v_add_f32_e32 v45, v104, v45
	v_fma_f32 v102, 0x3f116cb1, v92, -v106
	v_add_f32_e32 v52, v100, v17
	v_fmamk_f32 v17, v11, 0x3f116cb1, v90
	v_mul_f32_e32 v100, 0xbf6f5d39, v85
	v_add_f32_e32 v55, v93, v55
	v_fmamk_f32 v93, v8, 0xbf29c268, v98
	v_mul_f32_e32 v101, 0x3df6dbef, v39
	v_add_f32_e32 v45, v102, v45
	v_add_f32_e32 v17, v0, v17
	v_fmamk_f32 v102, v12, 0xbeb58ec6, v100
	v_mul_f32_e32 v103, 0xbe750f2a, v87
	v_add_f32_e32 v55, v93, v55
	v_fmamk_f32 v93, v9, 0xbf7e222b, v101
	v_mul_f32_e32 v104, 0x3f62ad3f, v92
	v_add_f32_e32 v17, v102, v17
	v_fmamk_f32 v102, v13, 0xbf788fa5, v103
	v_mul_f32_e32 v105, 0x3f29c268, v91
	v_mul_f32_e32 v106, 0x3f62ad3f, v46
	v_add_f32_e32 v46, v93, v55
	v_fmamk_f32 v55, v10, 0xbeedf032, v104
	v_add_f32_e32 v49, v49, v1
	v_add_f32_e32 v17, v102, v17
	v_fmamk_f32 v93, v14, 0xbf3f9e67, v105
	v_fmamk_f32 v102, v25, 0x3eedf032, v106
	v_mul_f32_e32 v107, 0x3f116cb1, v47
	v_add_f32_e32 v47, v55, v46
	v_mul_f32_e32 v55, 0x3f7e222b, v94
	v_add_f32_e32 v36, v36, v49
	v_add_f32_e32 v17, v93, v17
	v_add_f32_e32 v46, v1, v102
	v_fmamk_f32 v93, v24, 0x3f52af12, v107
	v_mul_f32_e32 v54, 0x3df6dbef, v54
	v_fmamk_f32 v102, v15, 0x3df6dbef, v55
	v_mul_f32_e32 v108, 0x3eedf032, v99
	v_add_f32_e32 v31, v31, v36
	v_add_f32_e32 v36, v0, v51
	;; [unrolled: 1-line block ×3, first 2 shown]
	v_fmamk_f32 v93, v21, 0x3f7e222b, v54
	v_add_f32_e32 v17, v102, v17
	v_fmamk_f32 v49, v16, 0x3f62ad3f, v108
	v_mul_f32_e32 v58, 0xbeedf032, v58
	v_add_f32_e32 v31, v37, v31
	v_add_f32_e32 v36, v48, v36
	;; [unrolled: 1-line block ×4, first 2 shown]
	v_fmamk_f32 v49, v11, 0x3f62ad3f, v58
	v_mul_f32_e32 v37, 0xbf52af12, v85
	v_add_f32_e32 v31, v38, v31
	v_add_f32_e32 v33, v33, v36
	v_mul_f32_e32 v38, 0xbf7e222b, v87
	v_add_f32_e32 v48, v0, v49
	v_fmamk_f32 v36, v12, 0x3f116cb1, v37
	v_add_f32_e32 v31, v88, v31
	v_add_f32_e32 v30, v30, v33
	v_fma_f32 v114, 0xbf788fa5, v56, -v114
	v_mul_f32_e32 v56, 0xbeb58ec6, v56
	v_add_f32_e32 v33, v36, v48
	v_fmamk_f32 v36, v13, 0x3df6dbef, v38
	v_mul_f32_e32 v48, 0xbf6f5d39, v91
	v_add_f32_e32 v31, v86, v31
	v_add_f32_e32 v29, v29, v30
	v_fma_f32 v112, 0x3f62ad3f, v39, -v113
	v_fmamk_f32 v102, v8, 0x3f6f5d39, v56
	v_mul_f32_e32 v39, 0xbf3f9e67, v39
	v_add_f32_e32 v30, v36, v33
	v_fmamk_f32 v33, v14, 0xbeb58ec6, v48
	v_add_f32_e32 v18, v18, v31
	v_add_f32_e32 v22, v22, v29
	v_mul_f32_e32 v29, 0xbf29c268, v94
	v_add_f32_e32 v17, v102, v93
	v_fmamk_f32 v49, v9, 0x3f29c268, v39
	v_mul_f32_e32 v31, 0xbf788fa5, v92
	v_add_f32_e32 v30, v33, v30
	v_add_f32_e32 v18, v28, v18
	v_add_f32_e32 v19, v19, v22
	v_fmamk_f32 v22, v15, 0xbf3f9e67, v29
	v_mul_f32_e32 v28, 0xbe750f2a, v99
	v_add_f32_e32 v17, v49, v17
	v_fmamk_f32 v33, v10, 0x3e750f2a, v31
	v_add_f32_e32 v26, v26, v18
	v_add_f32_e32 v19, v23, v19
	;; [unrolled: 1-line block ×3, first 2 shown]
	v_fmamk_f32 v23, v16, 0xbf788fa5, v28
	v_add_f32_e32 v18, v33, v17
	v_add_f32_e32 v26, v32, v26
	;; [unrolled: 1-line block ×3, first 2 shown]
	v_fmac_f32_e32 v120, 0xbe750f2a, v25
	v_add_f32_e32 v17, v23, v22
	v_fma_f32 v22, 0xbf788fa5, v11, -v126
	v_add_f32_e32 v20, v34, v26
	v_fma_f32 v26, 0x3f62ad3f, v12, -v128
	v_fmac_f32_e32 v57, 0xbf52af12, v25
	v_fmac_f32_e32 v106, 0xbeedf032, v25
	v_add_f32_e32 v22, v0, v22
	v_add_f32_e32 v23, v1, v120
	v_fmac_f32_e32 v122, 0x3eedf032, v24
	v_add_f32_e32 v19, v27, v19
	v_add_f32_e32 v27, v1, v57
	;; [unrolled: 1-line block ×3, first 2 shown]
	v_fma_f32 v26, 0xbf3f9e67, v13, -v131
	v_fmac_f32_e32 v59, 0xbf6f5d39, v24
	v_add_f32_e32 v1, v1, v106
	v_fmac_f32_e32 v107, 0xbf52af12, v24
	v_add_f32_e32 v23, v122, v23
	v_add_f32_e32 v22, v26, v22
	v_fma_f32 v26, 0x3f116cb1, v14, -v133
	v_fmac_f32_e32 v125, 0xbf29c268, v21
	v_add_f32_e32 v27, v59, v27
	v_fmac_f32_e32 v89, 0xbe750f2a, v21
	v_fma_f32 v24, 0xbf788fa5, v13, -v103
	v_add_f32_e32 v22, v26, v22
	v_fma_f32 v26, 0xbeb58ec6, v15, -v134
	v_add_f32_e32 v1, v107, v1
	v_fmac_f32_e32 v54, 0xbf7e222b, v21
	v_add_f32_e32 v23, v125, v23
	v_fmac_f32_e32 v127, 0x3f52af12, v8
	v_add_f32_e32 v22, v26, v22
	v_fma_f32 v26, 0x3df6dbef, v16, -v130
	v_add_f32_e32 v27, v89, v27
	v_fmac_f32_e32 v98, 0x3f29c268, v8
	v_add_f32_e32 v1, v54, v1
	v_fmac_f32_e32 v56, 0xbf6f5d39, v8
	v_add_f32_e32 v22, v26, v22
	v_fma_f32 v26, 0x3f116cb1, v11, -v90
	v_fma_f32 v11, 0x3f62ad3f, v11, -v58
	;; [unrolled: 1-line block ×3, first 2 shown]
	v_add_f32_e32 v109, v114, v109
	v_add_f32_e32 v23, v127, v23
	;; [unrolled: 1-line block ×3, first 2 shown]
	v_fma_f32 v26, 0xbeb58ec6, v12, -v100
	v_add_f32_e32 v0, v0, v11
	v_fma_f32 v11, 0x3f116cb1, v12, -v37
	v_fmac_f32_e32 v129, 0xbf6f5d39, v9
	v_add_f32_e32 v19, v35, v19
	v_add_f32_e32 v12, v26, v25
	;; [unrolled: 1-line block ×4, first 2 shown]
	v_fma_f32 v11, 0x3df6dbef, v13, -v38
	v_fma_f32 v13, 0xbf3f9e67, v14, -v105
	v_add_f32_e32 v12, v24, v12
	v_fmac_f32_e32 v101, 0x3f7e222b, v9
	v_add_f32_e32 v1, v56, v1
	v_add_f32_e32 v0, v11, v0
	v_fmac_f32_e32 v39, 0xbf29c268, v9
	v_add_f32_e32 v11, v13, v12
	v_fma_f32 v12, 0x3df6dbef, v15, -v55
	v_add_f32_e32 v109, v112, v109
	v_add_f32_e32 v0, v8, v0
	v_fma_f32 v8, 0xbf3f9e67, v15, -v29
	v_fma_f32 v112, 0xbeb58ec6, v92, -v118
	v_add_f32_e32 v23, v129, v23
	v_fmac_f32_e32 v132, 0x3f7e222b, v10
	v_add_f32_e32 v19, v50, v19
	v_add_f32_e32 v27, v101, v27
	v_fmac_f32_e32 v104, 0x3eedf032, v10
	v_add_f32_e32 v9, v12, v11
	v_fma_f32 v11, 0x3f62ad3f, v16, -v108
	v_add_f32_e32 v12, v39, v1
	v_fmac_f32_e32 v31, 0xbe750f2a, v10
	v_add_f32_e32 v8, v8, v0
	v_fma_f32 v10, 0xbf788fa5, v16, -v28
	v_lshl_add_u32 v13, v95, 3, v97
	v_add_f32_e32 v43, v112, v109
	v_add_f32_e32 v23, v132, v23
	;; [unrolled: 1-line block ×6, first 2 shown]
	ds_write_b64 v96, v[19:20]
	ds_write2_b64 v13, v[17:18], v[46:47] offset0:12 offset1:24
	ds_write2_b64 v13, v[52:53], v[44:45] offset0:36 offset1:48
	;; [unrolled: 1-line block ×6, first 2 shown]
.LBB0_9:
	s_or_b32 exec_lo, exec_lo, s0
	s_waitcnt lgkmcnt(0)
	s_barrier
	buffer_gl0_inv
	ds_read2_b64 v[0:3], v96 offset1:13
	ds_read2_b64 v[4:7], v96 offset0:52 offset1:65
	ds_read2_b64 v[8:11], v96 offset0:104 offset1:117
	v_mad_u64_u32 v[16:17], null, s10, v60, 0
	v_mad_u64_u32 v[18:19], null, s8, v95, 0
	s_mov_b32 s0, 0x1a41a41a
	s_mov_b32 s1, 0x3f7a41a4
	s_mul_i32 s5, s9, 0x1a0
	s_mul_hi_u32 s6, s8, 0x1a0
	s_mul_i32 s4, s8, 0x1a0
	s_add_i32 s5, s6, s5
	v_mad_u64_u32 v[24:25], null, s11, v60, v[17:18]
	s_waitcnt lgkmcnt(2)
	v_mul_f32_e32 v20, v84, v1
	v_mul_f32_e32 v12, v84, v0
	s_waitcnt lgkmcnt(1)
	v_mul_f32_e32 v21, v80, v5
	v_mul_f32_e32 v13, v80, v4
	s_waitcnt lgkmcnt(0)
	v_mul_f32_e32 v26, v78, v9
	v_fmac_f32_e32 v20, v83, v0
	v_fma_f32 v22, v83, v1, -v12
	v_fmac_f32_e32 v21, v79, v4
	v_fma_f32 v23, v79, v5, -v13
	v_mul_f32_e32 v27, v78, v8
	v_cvt_f64_f32_e32 v[0:1], v20
	v_cvt_f64_f32_e32 v[4:5], v22
	v_cvt_f64_f32_e32 v[20:21], v21
	v_cvt_f64_f32_e32 v[22:23], v23
	v_mul_f32_e32 v28, v82, v3
	v_mul_f32_e32 v17, v82, v2
	v_fmac_f32_e32 v26, v77, v8
	v_fma_f32 v25, v77, v9, -v27
	v_mul_f32_e32 v31, v74, v7
	v_fmac_f32_e32 v28, v81, v2
	v_mul_f32_e32 v32, v74, v6
	v_mul_f32_e32 v34, v76, v10
	ds_read2_b64 v[12:15], v96 offset0:26 offset1:39
	v_fmac_f32_e32 v31, v73, v6
	v_cvt_f64_f32_e32 v[27:28], v28
	v_mul_f32_e32 v33, v76, v11
	v_fmac_f32_e32 v33, v75, v10
	v_mul_f64 v[0:1], v[0:1], s[0:1]
	v_mul_f64 v[4:5], v[4:5], s[0:1]
	v_mad_u64_u32 v[8:9], null, s9, v95, v[19:20]
	v_fma_f32 v9, v81, v3, -v17
	v_cvt_f64_f32_e32 v[2:3], v26
	v_mul_f64 v[20:21], v[20:21], s[0:1]
	v_mul_f64 v[22:23], v[22:23], s[0:1]
	v_mov_b32_e32 v17, v24
	v_cvt_f64_f32_e32 v[25:26], v25
	v_mov_b32_e32 v19, v8
	v_fma_f32 v24, v73, v7, -v32
	v_cvt_f64_f32_e32 v[29:30], v9
	v_lshlrev_b64 v[6:7], 3, v[16:17]
	v_fma_f32 v32, v75, v11, -v34
	v_lshlrev_b64 v[8:9], 3, v[18:19]
	v_cvt_f64_f32_e32 v[16:17], v24
	v_cvt_f64_f32_e32 v[10:11], v31
	s_waitcnt lgkmcnt(0)
	v_mul_f32_e32 v34, v62, v15
	v_add_co_u32 v6, vcc_lo, s2, v6
	v_add_co_ci_u32_e32 v7, vcc_lo, s3, v7, vcc_lo
	v_cvt_f32_f64_e32 v0, v[0:1]
	v_cvt_f32_f64_e32 v1, v[4:5]
	v_add_co_u32 v6, vcc_lo, v6, v8
	v_mul_f64 v[2:3], v[2:3], s[0:1]
	v_cvt_f32_f64_e32 v4, v[20:21]
	v_cvt_f32_f64_e32 v5, v[22:23]
	v_add_co_ci_u32_e32 v7, vcc_lo, v7, v9, vcc_lo
	v_add_co_u32 v22, vcc_lo, v6, s4
	v_mul_f64 v[18:19], v[25:26], s[0:1]
	v_add_co_ci_u32_e32 v23, vcc_lo, s5, v7, vcc_lo
	v_mul_f64 v[24:25], v[27:28], s[0:1]
	v_cvt_f64_f32_e32 v[26:27], v32
	v_mul_f64 v[20:21], v[29:30], s[0:1]
	v_cvt_f64_f32_e32 v[8:9], v33
	global_store_dwordx2 v[6:7], v[0:1], off
	global_store_dwordx2 v[22:23], v[4:5], off
	v_cvt_f32_f64_e32 v30, v[2:3]
	ds_read2_b64 v[0:3], v96 offset0:78 offset1:91
	ds_read2_b64 v[4:7], v96 offset0:130 offset1:143
	v_add_co_u32 v28, vcc_lo, v22, s4
	v_add_co_ci_u32_e32 v29, vcc_lo, s5, v23, vcc_lo
	v_mul_f32_e32 v22, v68, v13
	v_mul_f32_e32 v23, v68, v12
	v_cvt_f32_f64_e32 v31, v[18:19]
	v_cvt_f32_f64_e32 v18, v[24:25]
	v_fmac_f32_e32 v34, v61, v14
	v_fmac_f32_e32 v22, v67, v12
	v_fma_f32 v24, v67, v13, -v23
	v_mul_f64 v[12:13], v[16:17], s[0:1]
	v_mul_f64 v[16:17], v[26:27], s[0:1]
	v_mul_f32_e32 v14, v62, v14
	v_mul_f64 v[10:11], v[10:11], s[0:1]
	v_cvt_f64_f32_e32 v[22:23], v22
	v_cvt_f64_f32_e32 v[24:25], v24
	v_cvt_f32_f64_e32 v19, v[20:21]
	s_waitcnt lgkmcnt(1)
	v_mul_f32_e32 v26, v64, v1
	v_mul_f32_e32 v27, v64, v0
	s_waitcnt lgkmcnt(0)
	v_mul_f32_e32 v32, v66, v5
	v_mul_f32_e32 v33, v66, v4
	;; [unrolled: 1-line block ×4, first 2 shown]
	v_fmac_f32_e32 v26, v63, v0
	v_fma_f32 v27, v63, v1, -v27
	v_mul_f32_e32 v38, v72, v7
	v_mul_f32_e32 v39, v72, v6
	v_fmac_f32_e32 v32, v65, v4
	v_fma_f32 v33, v65, v5, -v33
	v_fma_f32 v14, v61, v15, -v14
	v_fmac_f32_e32 v36, v69, v2
	v_fma_f32 v15, v69, v3, -v37
	v_cvt_f64_f32_e32 v[0:1], v26
	v_cvt_f64_f32_e32 v[4:5], v27
	v_fmac_f32_e32 v38, v71, v6
	v_fma_f32 v39, v71, v7, -v39
	v_mul_f64 v[8:9], v[8:9], s[0:1]
	v_cvt_f64_f32_e32 v[26:27], v32
	v_cvt_f64_f32_e32 v[32:33], v33
	;; [unrolled: 1-line block ×6, first 2 shown]
	s_mul_hi_u32 s3, s8, 0xfffffd28
	v_cvt_f64_f32_e32 v[36:37], v38
	v_cvt_f64_f32_e32 v[38:39], v39
	s_mul_i32 s2, s9, 0xfffffd28
	s_sub_i32 s3, s3, s8
	v_cvt_f32_f64_e32 v10, v[10:11]
	s_add_i32 s3, s3, s2
	s_mul_i32 s2, s8, 0xfffffd28
	v_cvt_f32_f64_e32 v11, v[12:13]
	v_add_co_u32 v20, vcc_lo, v28, s2
	v_add_co_ci_u32_e32 v21, vcc_lo, s3, v29, vcc_lo
	global_store_dwordx2 v[28:29], v[30:31], off
	global_store_dwordx2 v[20:21], v[18:19], off
	v_mul_f64 v[12:13], v[22:23], s[0:1]
	v_mul_f64 v[18:19], v[24:25], s[0:1]
	;; [unrolled: 1-line block ×4, first 2 shown]
	v_cvt_f32_f64_e32 v8, v[8:9]
	v_cvt_f32_f64_e32 v9, v[16:17]
	v_mul_f64 v[16:17], v[26:27], s[0:1]
	v_mul_f64 v[22:23], v[32:33], s[0:1]
	;; [unrolled: 1-line block ×8, first 2 shown]
	v_add_co_u32 v20, vcc_lo, v20, s4
	v_add_co_ci_u32_e32 v21, vcc_lo, s5, v21, vcc_lo
	v_add_co_u32 v30, vcc_lo, v20, s4
	v_add_co_ci_u32_e32 v31, vcc_lo, s5, v21, vcc_lo
	v_cvt_f32_f64_e32 v12, v[12:13]
	v_cvt_f32_f64_e32 v13, v[18:19]
	v_add_co_u32 v18, vcc_lo, v30, s2
	v_add_co_ci_u32_e32 v19, vcc_lo, s3, v31, vcc_lo
	v_cvt_f32_f64_e32 v0, v[0:1]
	v_cvt_f32_f64_e32 v1, v[4:5]
	;; [unrolled: 4-line block ×3, first 2 shown]
	v_cvt_f32_f64_e32 v22, v[24:25]
	v_cvt_f32_f64_e32 v23, v[2:3]
	;; [unrolled: 1-line block ×6, first 2 shown]
	v_add_co_u32 v14, vcc_lo, v4, s4
	v_add_co_ci_u32_e32 v15, vcc_lo, s5, v5, vcc_lo
	global_store_dwordx2 v[20:21], v[10:11], off
	v_add_co_u32 v10, vcc_lo, v14, s2
	v_add_co_ci_u32_e32 v11, vcc_lo, s3, v15, vcc_lo
	global_store_dwordx2 v[30:31], v[8:9], off
	;; [unrolled: 3-line block ×4, first 2 shown]
	global_store_dwordx2 v[14:15], v[16:17], off
	global_store_dwordx2 v[10:11], v[22:23], off
	;; [unrolled: 1-line block ×4, first 2 shown]
.LBB0_10:
	s_endpgm
	.section	.rodata,"a",@progbits
	.p2align	6, 0x0
	.amdhsa_kernel bluestein_single_fwd_len156_dim1_sp_op_CI_CI
		.amdhsa_group_segment_fixed_size 11232
		.amdhsa_private_segment_fixed_size 0
		.amdhsa_kernarg_size 104
		.amdhsa_user_sgpr_count 6
		.amdhsa_user_sgpr_private_segment_buffer 1
		.amdhsa_user_sgpr_dispatch_ptr 0
		.amdhsa_user_sgpr_queue_ptr 0
		.amdhsa_user_sgpr_kernarg_segment_ptr 1
		.amdhsa_user_sgpr_dispatch_id 0
		.amdhsa_user_sgpr_flat_scratch_init 0
		.amdhsa_user_sgpr_private_segment_size 0
		.amdhsa_wavefront_size32 1
		.amdhsa_uses_dynamic_stack 0
		.amdhsa_system_sgpr_private_segment_wavefront_offset 0
		.amdhsa_system_sgpr_workgroup_id_x 1
		.amdhsa_system_sgpr_workgroup_id_y 0
		.amdhsa_system_sgpr_workgroup_id_z 0
		.amdhsa_system_sgpr_workgroup_info 0
		.amdhsa_system_vgpr_workitem_id 0
		.amdhsa_next_free_vgpr 213
		.amdhsa_next_free_sgpr 20
		.amdhsa_reserve_vcc 1
		.amdhsa_reserve_flat_scratch 0
		.amdhsa_float_round_mode_32 0
		.amdhsa_float_round_mode_16_64 0
		.amdhsa_float_denorm_mode_32 3
		.amdhsa_float_denorm_mode_16_64 3
		.amdhsa_dx10_clamp 1
		.amdhsa_ieee_mode 1
		.amdhsa_fp16_overflow 0
		.amdhsa_workgroup_processor_mode 1
		.amdhsa_memory_ordered 1
		.amdhsa_forward_progress 0
		.amdhsa_shared_vgpr_count 0
		.amdhsa_exception_fp_ieee_invalid_op 0
		.amdhsa_exception_fp_denorm_src 0
		.amdhsa_exception_fp_ieee_div_zero 0
		.amdhsa_exception_fp_ieee_overflow 0
		.amdhsa_exception_fp_ieee_underflow 0
		.amdhsa_exception_fp_ieee_inexact 0
		.amdhsa_exception_int_div_zero 0
	.end_amdhsa_kernel
	.text
.Lfunc_end0:
	.size	bluestein_single_fwd_len156_dim1_sp_op_CI_CI, .Lfunc_end0-bluestein_single_fwd_len156_dim1_sp_op_CI_CI
                                        ; -- End function
	.section	.AMDGPU.csdata,"",@progbits
; Kernel info:
; codeLenInByte = 11516
; NumSgprs: 22
; NumVgprs: 213
; ScratchSize: 0
; MemoryBound: 0
; FloatMode: 240
; IeeeMode: 1
; LDSByteSize: 11232 bytes/workgroup (compile time only)
; SGPRBlocks: 2
; VGPRBlocks: 26
; NumSGPRsForWavesPerEU: 22
; NumVGPRsForWavesPerEU: 213
; Occupancy: 4
; WaveLimiterHint : 1
; COMPUTE_PGM_RSRC2:SCRATCH_EN: 0
; COMPUTE_PGM_RSRC2:USER_SGPR: 6
; COMPUTE_PGM_RSRC2:TRAP_HANDLER: 0
; COMPUTE_PGM_RSRC2:TGID_X_EN: 1
; COMPUTE_PGM_RSRC2:TGID_Y_EN: 0
; COMPUTE_PGM_RSRC2:TGID_Z_EN: 0
; COMPUTE_PGM_RSRC2:TIDIG_COMP_CNT: 0
	.text
	.p2alignl 6, 3214868480
	.fill 48, 4, 3214868480
	.type	__hip_cuid_6370d225be86cf09,@object ; @__hip_cuid_6370d225be86cf09
	.section	.bss,"aw",@nobits
	.globl	__hip_cuid_6370d225be86cf09
__hip_cuid_6370d225be86cf09:
	.byte	0                               ; 0x0
	.size	__hip_cuid_6370d225be86cf09, 1

	.ident	"AMD clang version 19.0.0git (https://github.com/RadeonOpenCompute/llvm-project roc-6.4.0 25133 c7fe45cf4b819c5991fe208aaa96edf142730f1d)"
	.section	".note.GNU-stack","",@progbits
	.addrsig
	.addrsig_sym __hip_cuid_6370d225be86cf09
	.amdgpu_metadata
---
amdhsa.kernels:
  - .args:
      - .actual_access:  read_only
        .address_space:  global
        .offset:         0
        .size:           8
        .value_kind:     global_buffer
      - .actual_access:  read_only
        .address_space:  global
        .offset:         8
        .size:           8
        .value_kind:     global_buffer
      - .actual_access:  read_only
        .address_space:  global
        .offset:         16
        .size:           8
        .value_kind:     global_buffer
      - .actual_access:  read_only
        .address_space:  global
        .offset:         24
        .size:           8
        .value_kind:     global_buffer
      - .actual_access:  read_only
        .address_space:  global
        .offset:         32
        .size:           8
        .value_kind:     global_buffer
      - .offset:         40
        .size:           8
        .value_kind:     by_value
      - .address_space:  global
        .offset:         48
        .size:           8
        .value_kind:     global_buffer
      - .address_space:  global
        .offset:         56
        .size:           8
        .value_kind:     global_buffer
      - .address_space:  global
        .offset:         64
        .size:           8
        .value_kind:     global_buffer
      - .address_space:  global
        .offset:         72
        .size:           8
        .value_kind:     global_buffer
      - .offset:         80
        .size:           4
        .value_kind:     by_value
      - .address_space:  global
        .offset:         88
        .size:           8
        .value_kind:     global_buffer
      - .address_space:  global
        .offset:         96
        .size:           8
        .value_kind:     global_buffer
    .group_segment_fixed_size: 11232
    .kernarg_segment_align: 8
    .kernarg_segment_size: 104
    .language:       OpenCL C
    .language_version:
      - 2
      - 0
    .max_flat_workgroup_size: 117
    .name:           bluestein_single_fwd_len156_dim1_sp_op_CI_CI
    .private_segment_fixed_size: 0
    .sgpr_count:     22
    .sgpr_spill_count: 0
    .symbol:         bluestein_single_fwd_len156_dim1_sp_op_CI_CI.kd
    .uniform_work_group_size: 1
    .uses_dynamic_stack: false
    .vgpr_count:     213
    .vgpr_spill_count: 0
    .wavefront_size: 32
    .workgroup_processor_mode: 1
amdhsa.target:   amdgcn-amd-amdhsa--gfx1030
amdhsa.version:
  - 1
  - 2
...

	.end_amdgpu_metadata
